;; amdgpu-corpus repo=ROCm/rocFFT kind=compiled arch=gfx1201 opt=O3
	.text
	.amdgcn_target "amdgcn-amd-amdhsa--gfx1201"
	.amdhsa_code_object_version 6
	.protected	fft_rtc_fwd_len64_factors_4_4_2_2_wgs_64_tpt_4_dim2_dp_op_CI_CI_sbcc_twdbase8_2step_dirReg_intrinsicReadWrite ; -- Begin function fft_rtc_fwd_len64_factors_4_4_2_2_wgs_64_tpt_4_dim2_dp_op_CI_CI_sbcc_twdbase8_2step_dirReg_intrinsicReadWrite
	.globl	fft_rtc_fwd_len64_factors_4_4_2_2_wgs_64_tpt_4_dim2_dp_op_CI_CI_sbcc_twdbase8_2step_dirReg_intrinsicReadWrite
	.p2align	8
	.type	fft_rtc_fwd_len64_factors_4_4_2_2_wgs_64_tpt_4_dim2_dp_op_CI_CI_sbcc_twdbase8_2step_dirReg_intrinsicReadWrite,@function
fft_rtc_fwd_len64_factors_4_4_2_2_wgs_64_tpt_4_dim2_dp_op_CI_CI_sbcc_twdbase8_2step_dirReg_intrinsicReadWrite: ; @fft_rtc_fwd_len64_factors_4_4_2_2_wgs_64_tpt_4_dim2_dp_op_CI_CI_sbcc_twdbase8_2step_dirReg_intrinsicReadWrite
; %bb.0:
	s_load_b128 s[4:7], s[0:1], 0x10
	s_mov_b32 s8, ttmp9
	s_mov_b32 s9, 0
	s_wait_kmcnt 0x0
	s_load_b64 s[12:13], s[4:5], 0x8
	s_load_b64 s[4:5], s[0:1], 0x58
	;; [unrolled: 1-line block ×3, first 2 shown]
	s_wait_kmcnt 0x0
	s_add_nc_u64 s[2:3], s[12:13], -1
	s_delay_alu instid0(SALU_CYCLE_1) | instskip(NEXT) | instid1(SALU_CYCLE_1)
	s_lshr_b64 s[2:3], s[2:3], 4
	s_add_nc_u64 s[14:15], s[2:3], 1
	s_delay_alu instid0(SALU_CYCLE_1) | instskip(NEXT) | instid1(VALU_DEP_1)
	v_cmp_lt_u64_e64 s2, s[8:9], s[14:15]
	s_and_b32 vcc_lo, exec_lo, s2
	s_mov_b64 s[2:3], 0
	s_cbranch_vccnz .LBB0_2
; %bb.1:
	v_cvt_f32_u32_e32 v1, s14
	s_sub_co_i32 s3, 0, s14
	s_delay_alu instid0(VALU_DEP_1) | instskip(NEXT) | instid1(TRANS32_DEP_1)
	v_rcp_iflag_f32_e32 v1, v1
	v_mul_f32_e32 v1, 0x4f7ffffe, v1
	s_delay_alu instid0(VALU_DEP_1) | instskip(NEXT) | instid1(VALU_DEP_1)
	v_cvt_u32_f32_e32 v1, v1
	v_readfirstlane_b32 s2, v1
	s_delay_alu instid0(VALU_DEP_1) | instskip(NEXT) | instid1(SALU_CYCLE_1)
	s_mul_i32 s3, s3, s2
	s_mul_hi_u32 s3, s2, s3
	s_delay_alu instid0(SALU_CYCLE_1) | instskip(NEXT) | instid1(SALU_CYCLE_1)
	s_add_co_i32 s2, s2, s3
	s_mul_hi_u32 s2, s8, s2
	s_delay_alu instid0(SALU_CYCLE_1) | instskip(SKIP_2) | instid1(SALU_CYCLE_1)
	s_mul_i32 s3, s2, s14
	s_add_co_i32 s11, s2, 1
	s_sub_co_i32 s3, s8, s3
	s_sub_co_i32 s16, s3, s14
	s_cmp_ge_u32 s3, s14
	s_cselect_b32 s2, s11, s2
	s_cselect_b32 s3, s16, s3
	s_add_co_i32 s11, s2, 1
	s_cmp_ge_u32 s3, s14
	s_mov_b32 s3, s9
	s_cselect_b32 s2, s11, s2
.LBB0_2:
	s_load_b128 s[16:19], s[6:7], 0x8
	v_dual_mov_b32 v2, 0 :: v_dual_and_b32 v69, 15, v0
	s_mul_u64 s[6:7], s[2:3], s[14:15]
	s_delay_alu instid0(SALU_CYCLE_1) | instskip(NEXT) | instid1(SALU_CYCLE_1)
	s_sub_nc_u64 s[6:7], s[8:9], s[6:7]
	s_lshl_b64 s[8:9], s[6:7], 4
	s_wait_alu 0xfffe
	v_dual_mov_b32 v3, 0 :: v_dual_mov_b32 v66, s9
	v_or_b32_e32 v65, s8, v69
	s_add_nc_u64 s[6:7], s[8:9], 16
	s_delay_alu instid0(SALU_CYCLE_1) | instskip(NEXT) | instid1(VALU_DEP_2)
	v_cmp_le_u64_e64 s11, s[6:7], s[12:13]
	v_cmp_gt_u64_e32 vcc_lo, s[12:13], v[65:66]
	v_lshrrev_b32_e32 v66, 4, v0
	s_wait_kmcnt 0x0
	v_mad_co_u64_u32 v[67:68], null, s16, v69, 0
	v_mov_b32_e32 v4, 0
	s_mul_u64 s[6:7], s[8:9], s[16:17]
	s_mul_u64 s[14:15], s[18:19], s[2:3]
	s_or_b32 s3, s11, vcc_lo
	s_wait_alu 0xfffe
	s_add_nc_u64 s[6:7], s[14:15], s[6:7]
	s_delay_alu instid0(VALU_DEP_2) | instskip(SKIP_1) | instid1(VALU_DEP_2)
	v_dual_mov_b32 v1, v68 :: v_dual_mov_b32 v8, v4
	v_mov_b32_e32 v7, v3
	v_mad_co_u64_u32 v[5:6], null, s17, v69, v[1:2]
	v_dual_mov_b32 v6, v4 :: v_dual_mov_b32 v5, v3
	s_and_saveexec_b32 s7, s3
	s_cbranch_execz .LBB0_4
; %bb.3:
	v_mul_lo_u32 v1, s10, v66
	s_wait_alu 0xfffe
	s_delay_alu instid0(VALU_DEP_1) | instskip(NEXT) | instid1(VALU_DEP_1)
	v_add3_u32 v1, s6, v67, v1
	v_lshlrev_b64_e32 v[1:2], 4, v[1:2]
	s_delay_alu instid0(VALU_DEP_1) | instskip(NEXT) | instid1(VALU_DEP_2)
	v_add_co_u32 v1, vcc_lo, s4, v1
	v_add_co_ci_u32_e32 v2, vcc_lo, s5, v2, vcc_lo
	global_load_b128 v[5:8], v[1:2], off
.LBB0_4:
	s_wait_alu 0xfffe
	s_or_b32 exec_lo, exec_lo, s7
	v_dual_mov_b32 v1, v3 :: v_dual_add_nc_u32 v70, 16, v66
	v_mov_b32_e32 v2, v4
	s_and_saveexec_b32 s7, s3
	s_cbranch_execz .LBB0_6
; %bb.5:
	s_delay_alu instid0(VALU_DEP_2) | instskip(SKIP_1) | instid1(VALU_DEP_2)
	v_mul_lo_u32 v1, s10, v70
	v_mov_b32_e32 v2, 0
	v_add3_u32 v1, s6, v67, v1
	s_delay_alu instid0(VALU_DEP_1) | instskip(NEXT) | instid1(VALU_DEP_1)
	v_lshlrev_b64_e32 v[1:2], 4, v[1:2]
	v_add_co_u32 v1, vcc_lo, s4, v1
	s_wait_alu 0xfffd
	s_delay_alu instid0(VALU_DEP_2)
	v_add_co_ci_u32_e32 v2, vcc_lo, s5, v2, vcc_lo
	global_load_b128 v[1:4], v[1:2], off
.LBB0_6:
	s_wait_alu 0xfffe
	s_or_b32 exec_lo, exec_lo, s7
	v_mov_b32_e32 v19, 0
	v_mov_b32_e32 v20, 0
	s_delay_alu instid0(VALU_DEP_1)
	v_dual_mov_b32 v24, v20 :: v_dual_mov_b32 v23, v19
	v_dual_mov_b32 v22, v20 :: v_dual_mov_b32 v21, v19
	s_and_saveexec_b32 s7, s3
	s_cbranch_execz .LBB0_8
; %bb.7:
	v_dual_mov_b32 v10, 0 :: v_dual_add_nc_u32 v9, 32, v66
	s_delay_alu instid0(VALU_DEP_1) | instskip(NEXT) | instid1(VALU_DEP_1)
	v_mul_lo_u32 v9, s10, v9
	v_add3_u32 v9, s6, v67, v9
	s_delay_alu instid0(VALU_DEP_1) | instskip(NEXT) | instid1(VALU_DEP_1)
	v_lshlrev_b64_e32 v[9:10], 4, v[9:10]
	v_add_co_u32 v9, vcc_lo, s4, v9
	s_wait_alu 0xfffd
	s_delay_alu instid0(VALU_DEP_2)
	v_add_co_ci_u32_e32 v10, vcc_lo, s5, v10, vcc_lo
	global_load_b128 v[21:24], v[9:10], off
.LBB0_8:
	s_wait_alu 0xfffe
	s_or_b32 exec_lo, exec_lo, s7
	v_dual_mov_b32 v17, v19 :: v_dual_mov_b32 v18, v20
	s_and_saveexec_b32 s7, s3
	s_cbranch_execz .LBB0_10
; %bb.9:
	v_dual_mov_b32 v10, 0 :: v_dual_add_nc_u32 v9, 48, v66
	s_delay_alu instid0(VALU_DEP_1) | instskip(NEXT) | instid1(VALU_DEP_1)
	v_mul_lo_u32 v9, s10, v9
	v_add3_u32 v9, s6, v67, v9
	s_delay_alu instid0(VALU_DEP_1) | instskip(NEXT) | instid1(VALU_DEP_1)
	v_lshlrev_b64_e32 v[9:10], 4, v[9:10]
	v_add_co_u32 v9, vcc_lo, s4, v9
	s_wait_alu 0xfffd
	s_delay_alu instid0(VALU_DEP_2)
	v_add_co_ci_u32_e32 v10, vcc_lo, s5, v10, vcc_lo
	global_load_b128 v[17:20], v[9:10], off
.LBB0_10:
	s_wait_alu 0xfffe
	s_or_b32 exec_lo, exec_lo, s7
	v_dual_mov_b32 v11, 0 :: v_dual_add_nc_u32 v68, 4, v66
	v_mov_b32_e32 v12, 0
	s_delay_alu instid0(VALU_DEP_1)
	v_dual_mov_b32 v16, v12 :: v_dual_mov_b32 v15, v11
	v_dual_mov_b32 v14, v12 :: v_dual_mov_b32 v13, v11
	s_and_saveexec_b32 s7, s3
	s_cbranch_execz .LBB0_12
; %bb.11:
	v_mul_lo_u32 v9, s10, v68
	v_mov_b32_e32 v10, 0
	s_delay_alu instid0(VALU_DEP_2) | instskip(NEXT) | instid1(VALU_DEP_1)
	v_add3_u32 v9, s6, v67, v9
	v_lshlrev_b64_e32 v[9:10], 4, v[9:10]
	s_delay_alu instid0(VALU_DEP_1) | instskip(SKIP_1) | instid1(VALU_DEP_2)
	v_add_co_u32 v9, vcc_lo, s4, v9
	s_wait_alu 0xfffd
	v_add_co_ci_u32_e32 v10, vcc_lo, s5, v10, vcc_lo
	global_load_b128 v[13:16], v[9:10], off
.LBB0_12:
	s_wait_alu 0xfffe
	s_or_b32 exec_lo, exec_lo, s7
	v_dual_mov_b32 v9, v11 :: v_dual_add_nc_u32 v72, 20, v66
	v_mov_b32_e32 v10, v12
	s_and_saveexec_b32 s7, s3
	s_cbranch_execz .LBB0_14
; %bb.13:
	s_delay_alu instid0(VALU_DEP_2) | instskip(SKIP_1) | instid1(VALU_DEP_2)
	v_mul_lo_u32 v9, s10, v72
	v_mov_b32_e32 v10, 0
	v_add3_u32 v9, s6, v67, v9
	s_delay_alu instid0(VALU_DEP_1) | instskip(NEXT) | instid1(VALU_DEP_1)
	v_lshlrev_b64_e32 v[9:10], 4, v[9:10]
	v_add_co_u32 v9, vcc_lo, s4, v9
	s_wait_alu 0xfffd
	s_delay_alu instid0(VALU_DEP_2)
	v_add_co_ci_u32_e32 v10, vcc_lo, s5, v10, vcc_lo
	global_load_b128 v[9:12], v[9:10], off
.LBB0_14:
	s_wait_alu 0xfffe
	s_or_b32 exec_lo, exec_lo, s7
	v_mov_b32_e32 v31, 0
	v_mov_b32_e32 v32, 0
	s_delay_alu instid0(VALU_DEP_1)
	v_dual_mov_b32 v40, v32 :: v_dual_mov_b32 v39, v31
	v_dual_mov_b32 v38, v32 :: v_dual_mov_b32 v37, v31
	s_and_saveexec_b32 s7, s3
	s_cbranch_execz .LBB0_16
; %bb.15:
	v_dual_mov_b32 v26, 0 :: v_dual_add_nc_u32 v25, 36, v66
	s_delay_alu instid0(VALU_DEP_1) | instskip(NEXT) | instid1(VALU_DEP_1)
	v_mul_lo_u32 v25, s10, v25
	v_add3_u32 v25, s6, v67, v25
	s_delay_alu instid0(VALU_DEP_1) | instskip(NEXT) | instid1(VALU_DEP_1)
	v_lshlrev_b64_e32 v[25:26], 4, v[25:26]
	v_add_co_u32 v25, vcc_lo, s4, v25
	s_wait_alu 0xfffd
	s_delay_alu instid0(VALU_DEP_2)
	v_add_co_ci_u32_e32 v26, vcc_lo, s5, v26, vcc_lo
	global_load_b128 v[37:40], v[25:26], off
.LBB0_16:
	s_wait_alu 0xfffe
	s_or_b32 exec_lo, exec_lo, s7
	v_dual_mov_b32 v29, v31 :: v_dual_mov_b32 v30, v32
	s_and_saveexec_b32 s7, s3
	s_cbranch_execz .LBB0_18
; %bb.17:
	v_dual_mov_b32 v26, 0 :: v_dual_add_nc_u32 v25, 52, v66
	s_delay_alu instid0(VALU_DEP_1) | instskip(NEXT) | instid1(VALU_DEP_1)
	v_mul_lo_u32 v25, s10, v25
	v_add3_u32 v25, s6, v67, v25
	s_delay_alu instid0(VALU_DEP_1) | instskip(NEXT) | instid1(VALU_DEP_1)
	v_lshlrev_b64_e32 v[25:26], 4, v[25:26]
	v_add_co_u32 v25, vcc_lo, s4, v25
	s_wait_alu 0xfffd
	s_delay_alu instid0(VALU_DEP_2)
	v_add_co_ci_u32_e32 v26, vcc_lo, s5, v26, vcc_lo
	global_load_b128 v[29:32], v[25:26], off
.LBB0_18:
	s_wait_alu 0xfffe
	s_or_b32 exec_lo, exec_lo, s7
	v_mov_b32_e32 v27, 0
	v_dual_mov_b32 v28, 0 :: v_dual_add_nc_u32 v71, 8, v66
	s_delay_alu instid0(VALU_DEP_1)
	v_dual_mov_b32 v36, v28 :: v_dual_mov_b32 v35, v27
	v_dual_mov_b32 v34, v28 :: v_dual_mov_b32 v33, v27
	s_and_saveexec_b32 s7, s3
	s_cbranch_execz .LBB0_20
; %bb.19:
	v_mul_lo_u32 v25, s10, v71
	v_mov_b32_e32 v26, 0
	s_delay_alu instid0(VALU_DEP_2) | instskip(NEXT) | instid1(VALU_DEP_1)
	v_add3_u32 v25, s6, v67, v25
	v_lshlrev_b64_e32 v[25:26], 4, v[25:26]
	s_delay_alu instid0(VALU_DEP_1) | instskip(SKIP_1) | instid1(VALU_DEP_2)
	v_add_co_u32 v25, vcc_lo, s4, v25
	s_wait_alu 0xfffd
	v_add_co_ci_u32_e32 v26, vcc_lo, s5, v26, vcc_lo
	global_load_b128 v[33:36], v[25:26], off
.LBB0_20:
	s_wait_alu 0xfffe
	s_or_b32 exec_lo, exec_lo, s7
	v_dual_mov_b32 v25, v27 :: v_dual_add_nc_u32 v74, 24, v66
	v_mov_b32_e32 v26, v28
	s_and_saveexec_b32 s7, s3
	s_cbranch_execz .LBB0_22
; %bb.21:
	s_delay_alu instid0(VALU_DEP_2) | instskip(SKIP_1) | instid1(VALU_DEP_2)
	v_mul_lo_u32 v25, s10, v74
	v_mov_b32_e32 v26, 0
	v_add3_u32 v25, s6, v67, v25
	s_delay_alu instid0(VALU_DEP_1) | instskip(NEXT) | instid1(VALU_DEP_1)
	v_lshlrev_b64_e32 v[25:26], 4, v[25:26]
	v_add_co_u32 v25, vcc_lo, s4, v25
	s_wait_alu 0xfffd
	s_delay_alu instid0(VALU_DEP_2)
	v_add_co_ci_u32_e32 v26, vcc_lo, s5, v26, vcc_lo
	global_load_b128 v[25:28], v[25:26], off
.LBB0_22:
	s_wait_alu 0xfffe
	s_or_b32 exec_lo, exec_lo, s7
	v_mov_b32_e32 v43, 0
	v_mov_b32_e32 v44, 0
	s_delay_alu instid0(VALU_DEP_1)
	v_dual_mov_b32 v48, v44 :: v_dual_mov_b32 v47, v43
	v_dual_mov_b32 v46, v44 :: v_dual_mov_b32 v45, v43
	s_and_saveexec_b32 s7, s3
	s_cbranch_execz .LBB0_24
; %bb.23:
	v_dual_mov_b32 v42, 0 :: v_dual_add_nc_u32 v41, 40, v66
	s_delay_alu instid0(VALU_DEP_1) | instskip(NEXT) | instid1(VALU_DEP_1)
	v_mul_lo_u32 v41, s10, v41
	v_add3_u32 v41, s6, v67, v41
	s_delay_alu instid0(VALU_DEP_1) | instskip(NEXT) | instid1(VALU_DEP_1)
	v_lshlrev_b64_e32 v[41:42], 4, v[41:42]
	v_add_co_u32 v41, vcc_lo, s4, v41
	s_wait_alu 0xfffd
	s_delay_alu instid0(VALU_DEP_2)
	v_add_co_ci_u32_e32 v42, vcc_lo, s5, v42, vcc_lo
	global_load_b128 v[45:48], v[41:42], off
.LBB0_24:
	s_wait_alu 0xfffe
	s_or_b32 exec_lo, exec_lo, s7
	v_dual_mov_b32 v41, v43 :: v_dual_mov_b32 v42, v44
	s_and_saveexec_b32 s7, s3
	s_cbranch_execz .LBB0_26
; %bb.25:
	v_dual_mov_b32 v42, 0 :: v_dual_add_nc_u32 v41, 56, v66
	s_delay_alu instid0(VALU_DEP_1) | instskip(NEXT) | instid1(VALU_DEP_1)
	v_mul_lo_u32 v41, s10, v41
	v_add3_u32 v41, s6, v67, v41
	s_delay_alu instid0(VALU_DEP_1) | instskip(NEXT) | instid1(VALU_DEP_1)
	v_lshlrev_b64_e32 v[41:42], 4, v[41:42]
	v_add_co_u32 v41, vcc_lo, s4, v41
	s_wait_alu 0xfffd
	s_delay_alu instid0(VALU_DEP_2)
	v_add_co_ci_u32_e32 v42, vcc_lo, s5, v42, vcc_lo
	global_load_b128 v[41:44], v[41:42], off
.LBB0_26:
	s_wait_alu 0xfffe
	s_or_b32 exec_lo, exec_lo, s7
	v_mov_b32_e32 v51, 0
	v_dual_mov_b32 v52, 0 :: v_dual_add_nc_u32 v73, 12, v66
	s_delay_alu instid0(VALU_DEP_1)
	v_dual_mov_b32 v56, v52 :: v_dual_mov_b32 v55, v51
	v_dual_mov_b32 v54, v52 :: v_dual_mov_b32 v53, v51
	s_and_saveexec_b32 s7, s3
	s_cbranch_execz .LBB0_28
; %bb.27:
	v_mul_lo_u32 v49, s10, v73
	v_mov_b32_e32 v50, 0
	s_delay_alu instid0(VALU_DEP_2) | instskip(NEXT) | instid1(VALU_DEP_1)
	v_add3_u32 v49, s6, v67, v49
	v_lshlrev_b64_e32 v[49:50], 4, v[49:50]
	s_delay_alu instid0(VALU_DEP_1) | instskip(SKIP_1) | instid1(VALU_DEP_2)
	v_add_co_u32 v49, vcc_lo, s4, v49
	s_wait_alu 0xfffd
	v_add_co_ci_u32_e32 v50, vcc_lo, s5, v50, vcc_lo
	global_load_b128 v[53:56], v[49:50], off
.LBB0_28:
	s_wait_alu 0xfffe
	s_or_b32 exec_lo, exec_lo, s7
	v_mov_b32_e32 v49, v51
	v_dual_mov_b32 v50, v52 :: v_dual_add_nc_u32 v75, 28, v66
	s_and_saveexec_b32 s7, s3
	s_cbranch_execz .LBB0_30
; %bb.29:
	s_delay_alu instid0(VALU_DEP_1) | instskip(SKIP_1) | instid1(VALU_DEP_2)
	v_mul_lo_u32 v49, s10, v75
	v_mov_b32_e32 v50, 0
	v_add3_u32 v49, s6, v67, v49
	s_delay_alu instid0(VALU_DEP_1) | instskip(NEXT) | instid1(VALU_DEP_1)
	v_lshlrev_b64_e32 v[49:50], 4, v[49:50]
	v_add_co_u32 v49, vcc_lo, s4, v49
	s_wait_alu 0xfffd
	s_delay_alu instid0(VALU_DEP_2)
	v_add_co_ci_u32_e32 v50, vcc_lo, s5, v50, vcc_lo
	global_load_b128 v[49:52], v[49:50], off
.LBB0_30:
	s_wait_alu 0xfffe
	s_or_b32 exec_lo, exec_lo, s7
	s_clause 0x1
	s_load_b64 s[14:15], s[0:1], 0x20
	s_load_b64 s[12:13], s[0:1], 0x0
	v_mov_b32_e32 v59, 0
	v_mov_b32_e32 v60, 0
	s_delay_alu instid0(VALU_DEP_1)
	v_dual_mov_b32 v64, v60 :: v_dual_mov_b32 v63, v59
	v_dual_mov_b32 v62, v60 :: v_dual_mov_b32 v61, v59
	s_and_saveexec_b32 s7, s3
	s_cbranch_execz .LBB0_32
; %bb.31:
	v_dual_mov_b32 v58, 0 :: v_dual_add_nc_u32 v57, 44, v66
	s_delay_alu instid0(VALU_DEP_1) | instskip(NEXT) | instid1(VALU_DEP_1)
	v_mul_lo_u32 v57, s10, v57
	v_add3_u32 v57, s6, v67, v57
	s_delay_alu instid0(VALU_DEP_1) | instskip(NEXT) | instid1(VALU_DEP_1)
	v_lshlrev_b64_e32 v[57:58], 4, v[57:58]
	v_add_co_u32 v57, vcc_lo, s4, v57
	s_wait_alu 0xfffd
	s_delay_alu instid0(VALU_DEP_2)
	v_add_co_ci_u32_e32 v58, vcc_lo, s5, v58, vcc_lo
	global_load_b128 v[61:64], v[57:58], off
.LBB0_32:
	s_wait_alu 0xfffe
	s_or_b32 exec_lo, exec_lo, s7
	v_dual_mov_b32 v57, v59 :: v_dual_mov_b32 v58, v60
	s_and_saveexec_b32 s7, s3
	s_cbranch_execz .LBB0_34
; %bb.33:
	v_dual_mov_b32 v58, 0 :: v_dual_add_nc_u32 v57, 60, v66
	s_delay_alu instid0(VALU_DEP_1) | instskip(NEXT) | instid1(VALU_DEP_1)
	v_mul_lo_u32 v57, s10, v57
	v_add3_u32 v57, s6, v67, v57
	s_delay_alu instid0(VALU_DEP_1) | instskip(NEXT) | instid1(VALU_DEP_1)
	v_lshlrev_b64_e32 v[57:58], 4, v[57:58]
	v_add_co_u32 v57, vcc_lo, s4, v57
	s_wait_alu 0xfffd
	s_delay_alu instid0(VALU_DEP_2)
	v_add_co_ci_u32_e32 v58, vcc_lo, s5, v58, vcc_lo
	global_load_b128 v[57:60], v[57:58], off
.LBB0_34:
	s_wait_alu 0xfffe
	s_or_b32 exec_lo, exec_lo, s7
	s_wait_loadcnt 0x0
	v_add_f64_e64 v[76:77], v[5:6], -v[21:22]
	v_add_f64_e64 v[78:79], v[7:8], -v[23:24]
	;; [unrolled: 1-line block ×16, first 2 shown]
	v_lshlrev_b32_e32 v67, 10, v71
	s_wait_kmcnt 0x0
	s_clause 0x1
	s_load_b64 s[10:11], s[14:15], 0x0
	s_load_b128 s[4:7], s[14:15], 0x8
	v_fma_f64 v[57:58], v[5:6], 2.0, -v[76:77]
	v_fma_f64 v[59:60], v[7:8], 2.0, -v[78:79]
	;; [unrolled: 1-line block ×16, first 2 shown]
	v_add_f64_e64 v[3:4], v[76:77], -v[19:20]
	v_add_f64_e32 v[9:10], v[82:83], v[21:22]
	v_add_f64_e32 v[5:6], v[78:79], v[17:18]
	v_add_f64_e64 v[7:8], v[80:81], -v[23:24]
	v_add_f64_e64 v[11:12], v[45:46], -v[31:32]
	v_add_f64_e32 v[13:14], v[47:48], v[29:30]
	v_add_f64_e64 v[15:16], v[61:62], -v[39:40]
	v_add_f64_e32 v[17:18], v[63:64], v[37:38]
	v_add_f64_e64 v[19:20], v[57:58], -v[1:2]
	v_add_f64_e64 v[21:22], v[59:60], -v[41:42]
	v_bfe_u32 v2, v0, 4, 2
	v_lshlrev_b32_e32 v1, 4, v69
	v_add_f64_e64 v[23:24], v[84:85], -v[43:44]
	v_add_f64_e64 v[25:26], v[86:87], -v[88:89]
	;; [unrolled: 1-line block ×4, first 2 shown]
	v_add3_u32 v67, 0, v67, v1
	v_add_f64_e64 v[31:32], v[94:95], -v[49:50]
	v_add_f64_e64 v[33:34], v[96:97], -v[51:52]
	v_fma_f64 v[35:36], v[76:77], 2.0, -v[3:4]
	v_fma_f64 v[41:42], v[82:83], 2.0, -v[9:10]
	;; [unrolled: 1-line block ×8, first 2 shown]
	v_lshlrev_b32_e32 v63, 10, v66
	v_lshlrev_b32_e32 v80, 10, v73
	v_mul_u32_u24_e32 v81, 3, v2
	v_lshlrev_b32_e32 v64, 10, v68
	s_delay_alu instid0(VALU_DEP_4) | instskip(NEXT) | instid1(VALU_DEP_4)
	v_add3_u32 v63, 0, v63, v1
	v_add3_u32 v128, 0, v80, v1
	s_delay_alu instid0(VALU_DEP_4) | instskip(NEXT) | instid1(VALU_DEP_4)
	v_lshlrev_b32_e32 v80, 4, v81
	v_add3_u32 v64, 0, v64, v1
	v_fma_f64 v[51:52], v[57:58], 2.0, -v[19:20]
	v_fma_f64 v[53:54], v[59:60], 2.0, -v[21:22]
	;; [unrolled: 1-line block ×8, first 2 shown]
	ds_store_b128 v63, v[19:22] offset:512
	ds_store_b128 v63, v[3:6] offset:768
	;; [unrolled: 1-line block ×8, first 2 shown]
	ds_store_b128 v63, v[51:54]
	ds_store_b128 v63, v[35:38] offset:256
	ds_store_b128 v64, v[55:58]
	ds_store_b128 v64, v[39:42] offset:256
	;; [unrolled: 2-line block ×4, first 2 shown]
	global_wb scope:SCOPE_SE
	s_wait_dscnt 0x0
	s_wait_kmcnt 0x0
	s_barrier_signal -1
	s_barrier_wait -1
	global_inv scope:SCOPE_SE
	s_clause 0x2
	global_load_b128 v[3:6], v80, s[12:13]
	global_load_b128 v[7:10], v80, s[12:13] offset:16
	global_load_b128 v[11:14], v80, s[12:13] offset:32
	v_lshlrev_b32_e32 v15, 8, v70
	v_lshlrev_b32_e32 v16, 8, v66
	;; [unrolled: 1-line block ×3, first 2 shown]
	v_and_b32_e32 v64, 15, v72
	v_and_b32_e32 v67, 15, v74
	v_add3_u32 v33, 0, v15, v1
	v_add3_u32 v32, 0, v16, v1
	;; [unrolled: 1-line block ×3, first 2 shown]
	ds_load_b128 v[15:18], v33
	ds_load_b128 v[19:22], v32 offset:8192
	ds_load_b128 v[23:26], v32 offset:12288
	ds_load_b128 v[34:37], v32 offset:5120
	ds_load_b128 v[38:41], v32 offset:9216
	ds_load_b128 v[42:45], v32 offset:13312
	ds_load_b128 v[46:49], v32 offset:6144
	ds_load_b128 v[50:53], v29
	ds_load_b128 v[54:57], v32 offset:10240
	ds_load_b128 v[58:61], v32 offset:14336
	ds_load_b128 v[76:79], v32 offset:7168
	ds_load_b128 v[80:83], v32 offset:11264
	ds_load_b128 v[84:87], v32 offset:15360
	ds_load_b128 v[88:91], v32
	s_wait_loadcnt_dscnt 0x20d
	v_mul_f64_e32 v[27:28], v[17:18], v[5:6]
	v_mul_f64_e32 v[30:31], v[15:16], v[5:6]
	s_wait_loadcnt_dscnt 0x10c
	v_mul_f64_e32 v[62:63], v[21:22], v[9:10]
	v_mul_f64_e32 v[92:93], v[19:20], v[9:10]
	;; [unrolled: 3-line block ×3, first 2 shown]
	s_wait_dscnt 0xa
	v_mul_f64_e32 v[98:99], v[36:37], v[5:6]
	v_mul_f64_e32 v[100:101], v[34:35], v[5:6]
	s_wait_dscnt 0x9
	v_mul_f64_e32 v[102:103], v[40:41], v[9:10]
	v_mul_f64_e32 v[104:105], v[38:39], v[9:10]
	;; [unrolled: 3-line block ×9, first 2 shown]
	v_fma_f64 v[15:16], v[15:16], v[3:4], -v[27:28]
	v_fma_f64 v[17:18], v[17:18], v[3:4], v[30:31]
	v_fma_f64 v[19:20], v[19:20], v[7:8], -v[62:63]
	v_fma_f64 v[21:22], v[21:22], v[7:8], v[92:93]
	;; [unrolled: 2-line block ×12, first 2 shown]
	v_lshlrev_b32_e32 v3, 8, v71
	v_mad_i32_i24 v31, 0xfffffd00, v73, v128
	v_bfe_u32 v106, v0, 4, 4
	v_and_b32_e32 v107, 15, v75
	v_and_b32_e32 v108, 15, v71
	v_add3_u32 v30, 0, v3, v1
	ds_load_b128 v[3:6], v30
	ds_load_b128 v[7:10], v31
	global_wb scope:SCOPE_SE
	s_wait_dscnt 0x0
	s_barrier_signal -1
	s_barrier_wait -1
	global_inv scope:SCOPE_SE
	v_and_b32_e32 v109, 15, v73
	v_add_f64_e64 v[82:83], v[88:89], -v[19:20]
	v_add_f64_e64 v[84:85], v[90:91], -v[21:22]
	;; [unrolled: 1-line block ×16, first 2 shown]
	v_fma_f64 v[48:49], v[88:89], 2.0, -v[82:83]
	v_fma_f64 v[54:55], v[90:91], 2.0, -v[84:85]
	;; [unrolled: 1-line block ×12, first 2 shown]
	v_add_f64_e32 v[5:6], v[84:85], v[13:14]
	v_fma_f64 v[88:89], v[7:8], 2.0, -v[98:99]
	v_fma_f64 v[90:91], v[9:10], 2.0, -v[100:101]
	;; [unrolled: 1-line block ×4, first 2 shown]
	v_add_f64_e64 v[3:4], v[82:83], -v[19:20]
	v_add_f64_e64 v[7:8], v[86:87], -v[23:24]
	v_add_f64_e32 v[9:10], v[92:93], v[21:22]
	v_add_f64_e64 v[19:20], v[94:95], -v[25:26]
	v_add_f64_e32 v[21:22], v[96:97], v[36:37]
	v_add_f64_e32 v[36:37], v[100:101], v[42:43]
	v_lshlrev_b32_e32 v62, 2, v71
	v_lshlrev_b32_e32 v63, 2, v73
	s_delay_alu instid0(VALU_DEP_2) | instskip(NEXT) | instid1(VALU_DEP_1)
	v_and_or_b32 v62, 0x1f0, v62, v2
	v_lshlrev_b32_e32 v62, 8, v62
	v_add_f64_e64 v[11:12], v[48:49], -v[11:12]
	v_add_f64_e64 v[13:14], v[54:55], -v[15:16]
	s_delay_alu instid0(VALU_DEP_3)
	v_add3_u32 v62, 0, v62, v1
	v_add_f64_e64 v[15:16], v[56:57], -v[17:18]
	v_add_f64_e64 v[17:18], v[58:59], -v[27:28]
	v_lshlrev_b32_e32 v27, 2, v66
	v_lshlrev_b32_e32 v28, 2, v68
	v_add_f64_e64 v[23:24], v[76:77], -v[34:35]
	v_add_f64_e64 v[25:26], v[78:79], -v[40:41]
	;; [unrolled: 1-line block ×3, first 2 shown]
	v_and_or_b32 v27, 0xf0, v27, v2
	v_and_or_b32 v28, 0x1f0, v28, v2
	v_add_f64_e64 v[38:39], v[88:89], -v[44:45]
	v_add_f64_e64 v[40:41], v[90:91], -v[46:47]
	v_fma_f64 v[42:43], v[82:83], 2.0, -v[3:4]
	v_fma_f64 v[44:45], v[84:85], 2.0, -v[5:6]
	;; [unrolled: 1-line block ×3, first 2 shown]
	v_and_or_b32 v2, 0x1f0, v63, v2
	v_fma_f64 v[60:61], v[96:97], 2.0, -v[21:22]
	v_fma_f64 v[82:83], v[100:101], 2.0, -v[36:37]
	v_lshlrev_b32_e32 v27, 8, v27
	v_lshlrev_b32_e32 v28, 8, v28
	;; [unrolled: 1-line block ×4, first 2 shown]
	s_delay_alu instid0(VALU_DEP_4) | instskip(NEXT) | instid1(VALU_DEP_4)
	v_add3_u32 v27, 0, v27, v1
	v_add3_u32 v28, 0, v28, v1
	s_delay_alu instid0(VALU_DEP_4)
	v_add3_u32 v2, 0, v2, v1
	v_fma_f64 v[50:51], v[48:49], 2.0, -v[11:12]
	v_fma_f64 v[52:53], v[54:55], 2.0, -v[13:14]
	;; [unrolled: 1-line block ×11, first 2 shown]
	v_lshlrev_b32_e32 v89, 4, v106
	ds_store_b128 v27, v[11:14] offset:2048
	ds_store_b128 v27, v[3:6] offset:3072
	ds_store_b128 v27, v[50:53]
	ds_store_b128 v27, v[42:45] offset:1024
	ds_store_b128 v28, v[54:57]
	ds_store_b128 v28, v[46:49] offset:1024
	ds_store_b128 v28, v[15:18] offset:2048
	ds_store_b128 v28, v[7:10] offset:3072
	ds_store_b128 v62, v[76:79]
	ds_store_b128 v62, v[58:61] offset:1024
	ds_store_b128 v62, v[23:26] offset:2048
	;; [unrolled: 4-line block ×3, first 2 shown]
	ds_store_b128 v2, v[34:37] offset:3072
	global_wb scope:SCOPE_SE
	s_wait_dscnt 0x0
	s_barrier_signal -1
	s_barrier_wait -1
	global_inv scope:SCOPE_SE
	global_load_b128 v[2:5], v89, s[12:13] offset:192
	v_lshlrev_b32_e32 v88, 4, v67
	v_lshlrev_b32_e32 v18, 4, v107
	s_clause 0x5
	global_load_b128 v[6:9], v63, s[12:13] offset:192
	global_load_b128 v[10:13], v88, s[12:13] offset:192
	;; [unrolled: 1-line block ×3, first 2 shown]
	global_load_b64 v[26:27], v63, s[12:13] offset:200
	global_load_b64 v[62:63], v88, s[12:13] offset:200
	;; [unrolled: 1-line block ×3, first 2 shown]
	v_and_b32_e32 v28, 15, v68
	v_lshlrev_b32_e32 v19, 4, v108
	v_lshlrev_b32_e32 v20, 4, v109
	s_delay_alu instid0(VALU_DEP_3)
	v_lshlrev_b32_e32 v18, 4, v28
	s_clause 0x2
	global_load_b64 v[82:83], v18, s[12:13] offset:192
	global_load_b64 v[84:85], v19, s[12:13] offset:192
	;; [unrolled: 1-line block ×3, first 2 shown]
	ds_load_b128 v[18:21], v32 offset:8192
	ds_load_b128 v[22:25], v32 offset:9216
	;; [unrolled: 1-line block ×8, first 2 shown]
	ds_load_b128 v[58:61], v32
	ds_load_b128 v[76:79], v33
	s_wait_loadcnt_dscnt 0x808
	v_mul_f64_e32 v[92:93], v[24:25], v[8:9]
	v_mul_f64_e32 v[88:89], v[20:21], v[4:5]
	;; [unrolled: 1-line block ×4, first 2 shown]
	s_wait_loadcnt_dscnt 0x707
	v_mul_f64_e32 v[94:95], v[36:37], v[12:13]
	v_mul_f64_e32 v[12:13], v[34:35], v[12:13]
	s_wait_loadcnt_dscnt 0x606
	v_mul_f64_e32 v[96:97], v[40:41], v[16:17]
	v_mul_f64_e32 v[16:17], v[38:39], v[16:17]
	s_wait_dscnt 0x5
	v_mul_f64_e32 v[98:99], v[44:45], v[4:5]
	v_mul_f64_e32 v[4:5], v[42:43], v[4:5]
	s_wait_loadcnt_dscnt 0x504
	v_mul_f64_e32 v[100:101], v[48:49], v[26:27]
	v_mul_f64_e32 v[26:27], v[46:47], v[26:27]
	s_wait_loadcnt_dscnt 0x403
	;; [unrolled: 3-line block ×3, first 2 shown]
	v_mul_f64_e32 v[104:105], v[56:57], v[80:81]
	v_mul_f64_e32 v[80:81], v[54:55], v[80:81]
	s_wait_loadcnt 0x2
	v_fma_f64 v[92:93], v[22:23], v[82:83], -v[92:93]
	v_fma_f64 v[88:89], v[18:19], v[2:3], -v[88:89]
	v_fma_f64 v[90:91], v[20:21], v[2:3], v[90:91]
	v_fma_f64 v[82:83], v[24:25], v[82:83], v[8:9]
	s_wait_loadcnt 0x1
	v_fma_f64 v[94:95], v[34:35], v[84:85], -v[94:95]
	v_fma_f64 v[84:85], v[36:37], v[84:85], v[12:13]
	s_wait_loadcnt 0x0
	v_fma_f64 v[37:38], v[38:39], v[86:87], -v[96:97]
	v_fma_f64 v[39:40], v[40:41], v[86:87], v[16:17]
	v_fma_f64 v[41:42], v[42:43], v[2:3], -v[98:99]
	v_fma_f64 v[86:87], v[44:45], v[2:3], v[4:5]
	;; [unrolled: 2-line block ×5, first 2 shown]
	v_lshlrev_b32_e32 v10, 8, v72
	ds_load_b128 v[2:5], v29
	ds_load_b128 v[6:9], v30
	v_lshlrev_b32_e32 v14, 8, v74
	v_lshlrev_b32_e32 v15, 8, v75
	v_add3_u32 v36, 0, v10, v1
	ds_load_b128 v[10:13], v31
	v_lshlrev_b32_e32 v43, 1, v70
	v_add3_u32 v34, 0, v14, v1
	v_add3_u32 v35, 0, v15, v1
	ds_load_b128 v[14:17], v36
	ds_load_b128 v[18:21], v34
	;; [unrolled: 1-line block ×3, first 2 shown]
	global_wb scope:SCOPE_SE
	s_wait_dscnt 0x0
	s_barrier_signal -1
	s_barrier_wait -1
	global_inv scope:SCOPE_SE
	v_add_f64_e64 v[48:49], v[2:3], -v[92:93]
	v_add_f64_e64 v[44:45], v[58:59], -v[88:89]
	;; [unrolled: 1-line block ×16, first 2 shown]
	v_lshlrev_b32_e32 v26, 1, v66
	v_lshlrev_b32_e32 v38, 1, v68
	v_lshlrev_b32_e32 v41, 1, v71
	v_lshlrev_b32_e32 v42, 1, v73
	v_lshlrev_b32_e32 v37, 1, v72
	v_lshlrev_b32_e32 v39, 1, v74
	v_lshlrev_b32_e32 v40, 1, v75
	v_and_or_b32 v26, 0x60, v26, v106
	v_and_or_b32 v27, 0xe0, v38, v28
	v_and_or_b32 v28, 0xe0, v41, v108
	v_and_or_b32 v100, 0xe0, v42, v109
	v_and_or_b32 v101, 0xe0, v43, v106
	v_and_or_b32 v64, 0xe0, v37, v64
	v_and_or_b32 v67, 0xe0, v39, v67
	v_lshlrev_b32_e32 v26, 8, v26
	v_lshlrev_b32_e32 v27, 8, v27
	;; [unrolled: 1-line block ×5, first 2 shown]
	v_add3_u32 v26, 0, v26, v1
	v_add3_u32 v27, 0, v27, v1
	;; [unrolled: 1-line block ×3, first 2 shown]
	v_fma_f64 v[2:3], v[2:3], 2.0, -v[48:49]
	v_fma_f64 v[56:57], v[58:59], 2.0, -v[44:45]
	;; [unrolled: 1-line block ×16, first 2 shown]
	v_and_or_b32 v76, 0xe0, v40, v107
	v_lshlrev_b32_e32 v77, 8, v100
	v_lshlrev_b32_e32 v78, 8, v101
	v_add3_u32 v64, 0, v64, v1
	v_add3_u32 v67, 0, v67, v1
	v_lshlrev_b32_e32 v76, 8, v76
	v_add3_u32 v77, 0, v77, v1
	v_add3_u32 v78, 0, v78, v1
	s_delay_alu instid0(VALU_DEP_3)
	v_add3_u32 v1, 0, v76, v1
	ds_store_b128 v26, v[56:59]
	ds_store_b128 v26, v[44:47] offset:4096
	ds_store_b128 v27, v[2:5]
	ds_store_b128 v27, v[48:51] offset:4096
	;; [unrolled: 2-line block ×8, first 2 shown]
	global_wb scope:SCOPE_SE
	s_wait_dscnt 0x0
	s_barrier_signal -1
	s_barrier_wait -1
	global_inv scope:SCOPE_SE
	s_and_saveexec_b32 s5, s3
	s_cbranch_execz .LBB0_36
; %bb.35:
	v_and_b32_e32 v44, 31, v75
	v_and_b32_e32 v46, 31, v72
	v_and_b32_e32 v45, 31, v74
	v_and_b32_e32 v47, 31, v70
	v_and_b32_e32 v48, 31, v73
	v_lshlrev_b32_e32 v1, 4, v44
	v_lshlrev_b32_e32 v9, 4, v46
	v_and_b32_e32 v50, 31, v68
	v_lshlrev_b32_e32 v13, 4, v47
	v_mul_lo_u32 v25, v65, v44
	s_clause 0x1
	global_load_b128 v[5:8], v1, s[12:13] offset:448
	global_load_b128 v[9:12], v9, s[12:13] offset:448
	v_lshlrev_b32_e32 v1, 4, v45
	v_lshlrev_b32_e32 v17, 4, v48
	v_and_b32_e32 v49, 31, v71
	global_load_b128 v[13:16], v13, s[12:13] offset:448
	v_lshlrev_b32_e32 v26, 4, v50
	s_clause 0x1
	global_load_b128 v[1:4], v1, s[12:13] offset:448
	global_load_b128 v[21:24], v17, s[12:13] offset:448
	v_and_b32_e32 v53, 0xff, v25
	v_lshrrev_b32_e32 v54, 4, v25
	global_load_b128 v[25:28], v26, s[12:13] offset:448
	v_lshlrev_b32_e32 v17, 4, v49
	s_load_b64 s[14:15], s[0:1], 0x8
	v_bfe_u32 v51, v0, 4, 5
	v_lshlrev_b32_e32 v53, 4, v53
	v_and_b32_e32 v54, 0xff0, v54
	global_load_b128 v[17:20], v17, s[12:13] offset:448
	v_mul_lo_u32 v63, v65, v47
	v_lshlrev_b32_e32 v52, 4, v51
	global_load_b128 v[55:58], v52, s[12:13] offset:448
	s_wait_kmcnt 0x0
	s_clause 0x1
	global_load_b128 v[59:62], v53, s[14:15]
	global_load_b128 v[70:73], v54, s[14:15] offset:4096
	v_mul_lo_u32 v52, v65, v45
	v_mul_lo_u32 v53, v65, v46
	v_lshrrev_b32_e32 v0, 3, v0
	v_and_or_b32 v153, 0xc0, v39, v45
	v_and_or_b32 v154, 0xc0, v40, v44
	s_load_b64 s[0:1], s[0:1], 0x60
	v_mul_lo_u32 v152, s4, v69
	v_and_or_b32 v0, v0, 64, v51
	v_and_b32_e32 v54, 0xff, v52
	v_lshrrev_b32_e32 v52, 4, v52
	v_and_b32_e32 v64, 0xff, v53
	v_lshrrev_b32_e32 v53, 4, v53
	s_mul_i32 s3, s4, s8
	v_lshlrev_b32_e32 v54, 4, v54
	v_and_b32_e32 v52, 0xff0, v52
	s_clause 0x1
	global_load_b128 v[74:77], v54, s[14:15]
	global_load_b128 v[78:81], v52, s[14:15] offset:4096
	v_and_b32_e32 v52, 0xff, v63
	v_lshlrev_b32_e32 v54, 4, v64
	v_lshrrev_b32_e32 v63, 4, v63
	v_and_b32_e32 v53, 0xff0, v53
	s_clause 0x1
	global_load_b128 v[82:85], v54, s[14:15]
	global_load_b128 v[86:89], v53, s[14:15] offset:4096
	v_lshlrev_b32_e32 v52, 4, v52
	v_and_b32_e32 v53, 0xff0, v63
	s_clause 0x1
	global_load_b128 v[90:93], v52, s[14:15]
	global_load_b128 v[94:97], v53, s[14:15] offset:4096
	v_mul_lo_u32 v52, v65, v48
	s_mul_i32 s2, s6, s2
	s_delay_alu instid0(SALU_CYCLE_1) | instskip(NEXT) | instid1(VALU_DEP_1)
	s_add_co_i32 s2, s2, s3
	v_and_b32_e32 v53, 0xff, v52
	v_lshrrev_b32_e32 v52, 4, v52
	s_delay_alu instid0(VALU_DEP_2) | instskip(NEXT) | instid1(VALU_DEP_2)
	v_lshlrev_b32_e32 v53, 4, v53
	v_and_b32_e32 v52, 0xff0, v52
	s_clause 0x1
	global_load_b128 v[98:101], v53, s[14:15]
	global_load_b128 v[102:105], v52, s[14:15] offset:4096
	ds_load_b128 v[106:109], v32 offset:15360
	ds_load_b128 v[110:113], v32 offset:14336
	ds_load_b128 v[114:117], v33
	ds_load_b128 v[118:121], v32 offset:13312
	ds_load_b128 v[122:125], v32 offset:12288
	ds_load_b128 v[126:129], v32 offset:11264
	ds_load_b128 v[130:133], v32 offset:10240
	s_wait_loadcnt_dscnt 0x1106
	v_mul_f64_e32 v[52:53], v[106:107], v[7:8]
	v_mul_f64_e32 v[7:8], v[108:109], v[7:8]
	s_wait_loadcnt_dscnt 0x1003
	v_mul_f64_e32 v[67:68], v[118:119], v[11:12]
	v_mul_f64_e32 v[11:12], v[120:121], v[11:12]
	s_wait_loadcnt 0xe
	v_mul_f64_e32 v[63:64], v[110:111], v[3:4]
	v_mul_f64_e32 v[3:4], v[112:113], v[3:4]
	s_wait_loadcnt_dscnt 0xd01
	v_mul_f64_e32 v[134:135], v[126:127], v[23:24]
	v_mul_f64_e32 v[23:24], v[128:129], v[23:24]
	v_fma_f64 v[108:109], v[108:109], v[5:6], v[52:53]
	v_mul_f64_e32 v[52:53], v[122:123], v[15:16]
	v_mul_f64_e32 v[15:16], v[124:125], v[15:16]
	v_fma_f64 v[106:107], v[106:107], v[5:6], -v[7:8]
	ds_load_b128 v[5:8], v32 offset:8192
	v_fma_f64 v[67:68], v[120:121], v[9:10], v[67:68]
	v_fma_f64 v[118:119], v[118:119], v[9:10], -v[11:12]
	ds_load_b128 v[9:12], v32
	v_fma_f64 v[112:113], v[112:113], v[1:2], v[63:64]
	v_fma_f64 v[110:111], v[110:111], v[1:2], -v[3:4]
	ds_load_b128 v[1:4], v32 offset:9216
	s_wait_loadcnt_dscnt 0xb03
	v_mul_f64_e32 v[63:64], v[130:131], v[19:20]
	v_mul_f64_e32 v[136:137], v[132:133], v[19:20]
	v_mul_lo_u32 v19, v65, v49
	s_delay_alu instid0(VALU_DEP_1) | instskip(SKIP_1) | instid1(VALU_DEP_2)
	v_and_b32_e32 v20, 0xff, v19
	v_lshrrev_b32_e32 v19, 4, v19
	v_lshlrev_b32_e32 v20, 4, v20
	s_delay_alu instid0(VALU_DEP_2)
	v_and_b32_e32 v19, 0xff0, v19
	v_fma_f64 v[32:33], v[124:125], v[13:14], v[52:53]
	s_wait_dscnt 0x0
	v_mul_f64_e32 v[52:53], v[1:2], v[27:28]
	v_mul_f64_e32 v[27:28], v[3:4], v[27:28]
	v_fma_f64 v[120:121], v[122:123], v[13:14], -v[15:16]
	v_fma_f64 v[122:123], v[128:129], v[21:22], v[134:135]
	v_fma_f64 v[124:125], v[126:127], v[21:22], -v[23:24]
	s_clause 0x1
	global_load_b128 v[13:16], v20, s[14:15]
	global_load_b128 v[19:22], v19, s[14:15] offset:4096
	s_wait_loadcnt 0xc
	v_mul_f64_e32 v[126:127], v[5:6], v[57:58]
	v_mul_f64_e32 v[57:58], v[7:8], v[57:58]
	s_wait_loadcnt 0xa
	v_mul_f64_e32 v[128:129], v[61:62], v[72:73]
	v_fma_f64 v[132:133], v[132:133], v[17:18], v[63:64]
	v_fma_f64 v[130:131], v[130:131], v[17:18], -v[136:137]
	v_mul_f64_e32 v[17:18], v[59:60], v[72:73]
	v_or_b32_e32 v23, 32, v66
	v_mul_lo_u32 v24, v65, v50
	s_wait_loadcnt 0x6
	v_mul_f64_e32 v[72:73], v[84:85], v[88:89]
	s_delay_alu instid0(VALU_DEP_3) | instskip(NEXT) | instid1(VALU_DEP_3)
	v_mul_lo_u32 v23, v65, v23
	v_and_b32_e32 v54, 0xff, v24
	v_lshrrev_b32_e32 v24, 4, v24
	s_delay_alu instid0(VALU_DEP_3) | instskip(SKIP_1) | instid1(VALU_DEP_4)
	v_and_b32_e32 v63, 0xff, v23
	v_lshrrev_b32_e32 v23, 4, v23
	v_lshlrev_b32_e32 v54, 4, v54
	s_delay_alu instid0(VALU_DEP_4) | instskip(NEXT) | instid1(VALU_DEP_4)
	v_and_b32_e32 v24, 0xff0, v24
	v_lshlrev_b32_e32 v66, 4, v63
	v_mul_f64_e32 v[63:64], v[76:77], v[80:81]
	v_fma_f64 v[134:135], v[3:4], v[25:26], v[52:53]
	v_fma_f64 v[136:137], v[1:2], v[25:26], -v[27:28]
	v_mul_f64_e32 v[27:28], v[74:75], v[80:81]
	v_and_b32_e32 v52, 0xff0, v23
	s_clause 0x1
	global_load_b128 v[1:4], v54, s[14:15]
	global_load_b128 v[23:26], v24, s[14:15] offset:4096
	v_mul_f64_e32 v[80:81], v[82:83], v[88:89]
	v_fma_f64 v[126:127], v[7:8], v[55:56], v[126:127]
	v_fma_f64 v[138:139], v[5:6], v[55:56], -v[57:58]
	v_fma_f64 v[88:89], v[59:60], v[70:71], -v[128:129]
	s_clause 0x1
	global_load_b128 v[5:8], v66, s[14:15]
	global_load_b128 v[52:55], v52, s[14:15] offset:4096
	v_or_b32_e32 v57, 32, v44
	v_fma_f64 v[128:129], v[61:62], v[70:71], v[17:18]
	s_wait_loadcnt 0x8
	v_mul_f64_e32 v[70:71], v[90:91], v[96:97]
	v_mul_f64_e32 v[17:18], v[92:93], v[96:97]
	v_mul_lo_u32 v56, v65, v51
	v_mul_lo_u32 v57, v65, v57
	v_fma_f64 v[142:143], v[82:83], v[86:87], -v[72:73]
	v_and_or_b32 v51, 0xc0, v37, v46
	s_delay_alu instid0(VALU_DEP_4) | instskip(SKIP_1) | instid1(VALU_DEP_3)
	v_and_b32_e32 v58, 0xff, v56
	v_lshrrev_b32_e32 v56, 4, v56
	v_or_b32_e32 v156, 32, v51
	s_delay_alu instid0(VALU_DEP_3) | instskip(NEXT) | instid1(VALU_DEP_3)
	v_lshlrev_b32_e32 v58, 4, v58
	v_and_b32_e32 v60, 0xff0, v56
	v_fma_f64 v[96:97], v[74:75], v[78:79], -v[63:64]
	v_fma_f64 v[140:141], v[76:77], v[78:79], v[27:28]
	v_and_b32_e32 v27, 0xff, v57
	v_lshrrev_b32_e32 v28, 4, v57
	s_clause 0x1
	global_load_b128 v[56:59], v58, s[14:15]
	global_load_b128 v[60:63], v60, s[14:15] offset:4096
	s_wait_loadcnt 0x8
	v_mul_f64_e32 v[78:79], v[98:99], v[104:105]
	v_fma_f64 v[86:87], v[84:85], v[86:87], v[80:81]
	v_lshlrev_b32_e32 v64, 4, v27
	v_and_b32_e32 v66, 0xff0, v28
	v_mul_f64_e32 v[27:28], v[100:101], v[104:105]
	v_fma_f64 v[92:93], v[92:93], v[94:95], v[70:71]
	s_clause 0x1
	global_load_b128 v[70:73], v64, s[14:15]
	global_load_b128 v[74:77], v66, s[14:15] offset:4096
	v_fma_f64 v[90:91], v[90:91], v[94:95], -v[17:18]
	v_or_b32_e32 v17, 32, v45
	v_mul_lo_u32 v45, s10, v0
	v_or_b32_e32 v0, 32, v0
	s_delay_alu instid0(VALU_DEP_3) | instskip(NEXT) | instid1(VALU_DEP_2)
	v_mul_lo_u32 v17, v65, v17
	v_mul_lo_u32 v0, s10, v0
	s_delay_alu instid0(VALU_DEP_2) | instskip(SKIP_1) | instid1(VALU_DEP_2)
	v_and_b32_e32 v18, 0xff, v17
	v_lshrrev_b32_e32 v17, 4, v17
	v_lshlrev_b32_e32 v18, 4, v18
	s_delay_alu instid0(VALU_DEP_2)
	v_and_b32_e32 v17, 0xff0, v17
	v_fma_f64 v[94:95], v[98:99], v[102:103], -v[27:28]
	v_fma_f64 v[98:99], v[100:101], v[102:103], v[78:79]
	s_clause 0x1
	global_load_b128 v[78:81], v18, s[14:15]
	global_load_b128 v[82:85], v17, s[14:15] offset:4096
	s_wait_loadcnt 0xa
	v_mul_f64_e32 v[17:18], v[15:16], v[21:22]
	v_mul_f64_e32 v[21:22], v[13:14], v[21:22]
	s_wait_loadcnt 0x8
	v_mul_f64_e32 v[27:28], v[3:4], v[25:26]
	s_delay_alu instid0(VALU_DEP_3) | instskip(NEXT) | instid1(VALU_DEP_3)
	v_fma_f64 v[100:101], v[13:14], v[19:20], -v[17:18]
	v_fma_f64 v[102:103], v[15:16], v[19:20], v[21:22]
	v_mul_f64_e32 v[13:14], v[1:2], v[25:26]
	v_or_b32_e32 v19, 32, v46
	s_wait_loadcnt 0x6
	v_mul_f64_e32 v[15:16], v[7:8], v[54:55]
	v_mul_f64_e32 v[17:18], v[5:6], v[54:55]
	s_delay_alu instid0(VALU_DEP_3) | instskip(NEXT) | instid1(VALU_DEP_1)
	v_mul_lo_u32 v19, v65, v19
	v_and_b32_e32 v20, 0xff, v19
	v_lshrrev_b32_e32 v19, 4, v19
	s_delay_alu instid0(VALU_DEP_2) | instskip(NEXT) | instid1(VALU_DEP_2)
	v_lshlrev_b32_e32 v21, 4, v20
	v_and_b32_e32 v22, 0xff0, v19
	v_fma_f64 v[54:55], v[1:2], v[23:24], -v[27:28]
	s_wait_loadcnt 0x4
	v_mul_f64_e32 v[19:20], v[56:57], v[62:63]
	v_fma_f64 v[104:105], v[3:4], v[23:24], v[13:14]
	v_mul_f64_e32 v[13:14], v[58:59], v[62:63]
	v_fma_f64 v[62:63], v[5:6], v[52:53], -v[15:16]
	v_fma_f64 v[52:53], v[7:8], v[52:53], v[17:18]
	s_clause 0x1
	global_load_b128 v[1:4], v21, s[14:15]
	global_load_b128 v[5:8], v22, s[14:15] offset:4096
	v_or_b32_e32 v15, 32, v47
	s_wait_loadcnt 0x4
	v_mul_f64_e32 v[21:22], v[72:73], v[76:77]
	v_mul_f64_e32 v[23:24], v[70:71], v[76:77]
	v_and_or_b32 v47, 0xc0, v43, v47
	v_mul_lo_u32 v15, v65, v15
	s_delay_alu instid0(VALU_DEP_2) | instskip(NEXT) | instid1(VALU_DEP_2)
	v_or_b32_e32 v155, 32, v47
	v_and_b32_e32 v16, 0xff, v15
	v_lshrrev_b32_e32 v15, 4, v15
	s_delay_alu instid0(VALU_DEP_2) | instskip(NEXT) | instid1(VALU_DEP_2)
	v_lshlrev_b32_e32 v16, 4, v16
	v_and_b32_e32 v17, 0xff0, v15
	v_fma_f64 v[58:59], v[60:61], v[58:59], v[19:20]
	v_fma_f64 v[56:57], v[56:57], v[60:61], -v[13:14]
	s_clause 0x1
	global_load_b128 v[13:16], v16, s[14:15]
	global_load_b128 v[17:20], v17, s[14:15] offset:4096
	s_wait_loadcnt 0x4
	v_mul_f64_e32 v[25:26], v[80:81], v[84:85]
	v_fma_f64 v[60:61], v[70:71], v[74:75], -v[21:22]
	v_mul_f64_e32 v[21:22], v[78:79], v[84:85]
	v_fma_f64 v[70:71], v[72:73], v[74:75], v[23:24]
	v_or_b32_e32 v23, 32, v48
	v_and_or_b32 v48, 0xc0, v42, v48
	s_delay_alu instid0(VALU_DEP_2) | instskip(NEXT) | instid1(VALU_DEP_1)
	v_mul_lo_u32 v23, v65, v23
	v_and_b32_e32 v24, 0xff, v23
	v_lshrrev_b32_e32 v23, 4, v23
	s_delay_alu instid0(VALU_DEP_2) | instskip(NEXT) | instid1(VALU_DEP_2)
	v_lshlrev_b32_e32 v24, 4, v24
	v_and_b32_e32 v27, 0xff0, v23
	v_fma_f64 v[72:73], v[78:79], v[82:83], -v[25:26]
	v_fma_f64 v[74:75], v[80:81], v[82:83], v[21:22]
	s_clause 0x1
	global_load_b128 v[21:24], v24, s[14:15]
	global_load_b128 v[25:28], v27, s[14:15] offset:4096
	s_wait_loadcnt 0x4
	v_mul_f64_e32 v[76:77], v[3:4], v[7:8]
	v_mul_f64_e32 v[7:8], v[1:2], v[7:8]
	s_wait_loadcnt 0x2
	v_mul_f64_e32 v[78:79], v[15:16], v[19:20]
	s_delay_alu instid0(VALU_DEP_3) | instskip(SKIP_1) | instid1(VALU_DEP_4)
	v_fma_f64 v[76:77], v[1:2], v[5:6], -v[76:77]
	v_mul_f64_e32 v[1:2], v[13:14], v[19:20]
	v_fma_f64 v[80:81], v[3:4], v[5:6], v[7:8]
	v_or_b32_e32 v3, 32, v49
	s_delay_alu instid0(VALU_DEP_1) | instskip(NEXT) | instid1(VALU_DEP_1)
	v_mul_lo_u32 v3, v65, v3
	v_and_b32_e32 v4, 0xff, v3
	v_lshrrev_b32_e32 v3, 4, v3
	s_delay_alu instid0(VALU_DEP_2) | instskip(NEXT) | instid1(VALU_DEP_2)
	v_lshlrev_b32_e32 v4, 4, v4
	v_and_b32_e32 v5, 0xff0, v3
	v_fma_f64 v[78:79], v[13:14], v[17:18], -v[78:79]
	v_fma_f64 v[82:83], v[15:16], v[17:18], v[1:2]
	s_clause 0x1
	global_load_b128 v[1:4], v4, s[14:15]
	global_load_b128 v[5:8], v5, s[14:15] offset:4096
	v_or_b32_e32 v17, 32, v50
	s_wait_loadcnt 0x2
	v_mul_f64_e32 v[13:14], v[23:24], v[27:28]
	v_mul_f64_e32 v[15:16], v[21:22], v[27:28]
	s_delay_alu instid0(VALU_DEP_3) | instskip(NEXT) | instid1(VALU_DEP_1)
	v_mul_lo_u32 v17, v65, v17
	v_and_b32_e32 v18, 0xff, v17
	v_lshrrev_b32_e32 v17, 4, v17
	s_delay_alu instid0(VALU_DEP_2) | instskip(NEXT) | instid1(VALU_DEP_2)
	v_lshlrev_b32_e32 v18, 4, v18
	v_and_b32_e32 v17, 0xff0, v17
	v_fma_f64 v[64:65], v[21:22], v[25:26], -v[13:14]
	v_fma_f64 v[84:85], v[23:24], v[25:26], v[15:16]
	s_clause 0x1
	global_load_b128 v[13:16], v18, s[14:15]
	global_load_b128 v[17:20], v17, s[14:15] offset:4096
	s_wait_loadcnt 0x2
	v_mul_f64_e32 v[21:22], v[3:4], v[7:8]
	v_mul_f64_e32 v[7:8], v[1:2], v[7:8]
	s_delay_alu instid0(VALU_DEP_2) | instskip(NEXT) | instid1(VALU_DEP_2)
	v_fma_f64 v[144:145], v[1:2], v[5:6], -v[21:22]
	v_fma_f64 v[146:147], v[3:4], v[5:6], v[7:8]
	ds_load_b128 v[1:4], v36
	s_wait_loadcnt 0x0
	v_mul_f64_e32 v[5:6], v[15:16], v[19:20]
	v_mul_f64_e32 v[7:8], v[13:14], v[19:20]
	s_delay_alu instid0(VALU_DEP_2) | instskip(NEXT) | instid1(VALU_DEP_2)
	v_fma_f64 v[148:149], v[13:14], v[17:18], -v[5:6]
	v_fma_f64 v[150:151], v[15:16], v[17:18], v[7:8]
	ds_load_b128 v[13:16], v35
	s_wait_dscnt 0x1
	v_add_f64_e64 v[25:26], v[1:2], -v[118:119]
	v_add_f64_e64 v[27:28], v[3:4], -v[67:68]
	;; [unrolled: 1-line block ×3, first 2 shown]
	ds_load_b128 v[5:8], v31
	v_and_or_b32 v35, 0xc0, v38, v50
	v_and_or_b32 v36, 0xc0, v41, v49
	v_mov_b32_e32 v68, 0
	v_mul_f64_e32 v[17:18], v[25:26], v[80:81]
	v_mul_f64_e32 v[21:22], v[27:28], v[80:81]
	v_add_f64_e64 v[80:81], v[116:117], -v[32:33]
	v_fma_f64 v[118:119], v[3:4], 2.0, -v[27:28]
	s_delay_alu instid0(VALU_DEP_4) | instskip(NEXT) | instid1(VALU_DEP_4)
	v_fma_f64 v[19:20], v[27:28], v[76:77], v[17:18]
	v_fma_f64 v[17:18], v[25:26], v[76:77], -v[21:22]
	v_fma_f64 v[76:77], v[1:2], 2.0, -v[25:26]
	v_mul_f64_e32 v[1:2], v[66:67], v[82:83]
	v_mul_f64_e32 v[25:26], v[80:81], v[82:83]
	s_wait_dscnt 0x1
	v_add_f64_e64 v[82:83], v[13:14], -v[106:107]
	v_add_f64_e64 v[106:107], v[15:16], -v[108:109]
	ds_load_b128 v[21:24], v34
	v_fma_f64 v[3:4], v[80:81], v[78:79], v[1:2]
	v_fma_f64 v[1:2], v[66:67], v[78:79], -v[25:26]
	ds_load_b128 v[25:28], v30
	ds_load_b128 v[29:32], v29
	s_wait_dscnt 0x3
	v_add_f64_e64 v[108:109], v[5:6], -v[124:125]
	v_add_f64_e64 v[120:121], v[7:8], -v[122:123]
	v_mul_f64_e32 v[33:34], v[82:83], v[70:71]
	v_mul_f64_e32 v[70:71], v[106:107], v[70:71]
	v_fma_f64 v[78:79], v[114:115], 2.0, -v[66:67]
	v_add3_u32 v67, v152, v45, s2
	v_or_b32_e32 v114, 32, v48
	v_fma_f64 v[80:81], v[116:117], 2.0, -v[80:81]
	v_mul_lo_u32 v66, s10, v35
	v_mul_lo_u32 v122, s10, v36
	v_lshlrev_b64_e32 v[45:46], 4, v[67:68]
	v_add3_u32 v67, v152, v0, s2
	v_add_f64_e64 v[116:117], v[11:12], -v[126:127]
	v_mul_lo_u32 v0, s10, v51
	s_wait_kmcnt 0x0
	s_delay_alu instid0(VALU_DEP_4)
	v_add_co_u32 v69, vcc_lo, s0, v45
	s_wait_dscnt 0x1
	v_add_f64_e64 v[37:38], v[25:26], -v[130:131]
	v_add_f64_e64 v[41:42], v[27:28], -v[132:133]
	s_wait_dscnt 0x0
	v_add_f64_e64 v[49:50], v[31:32], -v[134:135]
	v_mul_lo_u32 v130, s10, v48
	v_mul_f64_e32 v[39:40], v[108:109], v[84:85]
	v_mul_f64_e32 v[43:44], v[120:121], v[84:85]
	v_or_b32_e32 v84, 32, v35
	v_or_b32_e32 v85, 32, v36
	v_fma_f64 v[35:36], v[106:107], v[60:61], v[33:34]
	v_fma_f64 v[33:34], v[82:83], v[60:61], -v[70:71]
	v_mul_lo_u32 v71, s10, v47
	v_add_f64_e64 v[47:48], v[29:30], -v[136:137]
	v_mul_lo_u32 v136, s10, v114
	v_add_f64_e64 v[114:115], v[9:10], -v[138:139]
	s_wait_alu 0xfffd
	v_add_co_ci_u32_e32 v70, vcc_lo, s1, v46, vcc_lo
	v_lshlrev_b64_e32 v[45:46], 4, v[67:68]
	v_mul_lo_u32 v51, s10, v84
	v_mul_lo_u32 v123, s10, v85
	v_fma_f64 v[84:85], v[15:16], 2.0, -v[106:107]
	v_fma_f64 v[82:83], v[13:14], 2.0, -v[82:83]
	v_add3_u32 v67, v152, v66, s2
	v_mul_f64_e32 v[60:61], v[37:38], v[146:147]
	v_mul_f64_e32 v[106:107], v[41:42], v[146:147]
	;; [unrolled: 1-line block ×3, first 2 shown]
	v_fma_f64 v[132:133], v[31:32], 2.0, -v[49:50]
	v_mul_f64_e32 v[31:32], v[116:117], v[52:53]
	v_fma_f64 v[15:16], v[120:121], v[64:65], v[39:40]
	v_fma_f64 v[13:14], v[108:109], v[64:65], -v[43:44]
	v_add_co_u32 v65, vcc_lo, s0, v45
	s_wait_alu 0xfffd
	v_add_co_ci_u32_e32 v66, vcc_lo, s1, v46, vcc_lo
	v_add_f64_e64 v[43:44], v[21:22], -v[110:111]
	v_add_f64_e64 v[45:46], v[23:24], -v[112:113]
	v_lshlrev_b64_e32 v[39:40], 4, v[67:68]
	v_add3_u32 v67, v152, v51, s2
	v_fma_f64 v[134:135], v[29:30], 2.0, -v[47:48]
	v_mul_f64_e32 v[29:30], v[114:115], v[52:53]
	v_fma_f64 v[51:52], v[9:10], 2.0, -v[114:115]
	v_fma_f64 v[108:109], v[5:6], 2.0, -v[108:109]
	v_lshlrev_b64_e32 v[110:111], 4, v[67:68]
	v_add3_u32 v67, v152, v122, s2
	v_add_co_u32 v112, vcc_lo, s0, v39
	s_wait_alu 0xfffd
	v_add_co_ci_u32_e32 v113, vcc_lo, s1, v40, vcc_lo
	s_delay_alu instid0(VALU_DEP_3) | instskip(SKIP_4) | instid1(VALU_DEP_3)
	v_lshlrev_b64_e32 v[39:40], 4, v[67:68]
	v_add3_u32 v67, v152, v123, s2
	v_add_co_u32 v110, vcc_lo, s0, v110
	s_wait_alu 0xfffd
	v_add_co_ci_u32_e32 v111, vcc_lo, s1, v111, vcc_lo
	v_lshlrev_b64_e32 v[126:127], 4, v[67:68]
	v_add3_u32 v67, v152, v130, s2
	v_add_co_u32 v130, vcc_lo, s0, v39
	v_mul_f64_e32 v[122:123], v[47:48], v[150:151]
	s_wait_alu 0xfffd
	v_add_co_ci_u32_e32 v131, vcc_lo, s1, v40, vcc_lo
	v_fma_f64 v[39:40], v[11:12], 2.0, -v[116:117]
	v_fma_f64 v[120:121], v[7:8], 2.0, -v[120:121]
	v_fma_f64 v[7:8], v[41:42], v[144:145], v[60:61]
	v_fma_f64 v[5:6], v[37:38], v[144:145], -v[106:107]
	v_fma_f64 v[60:61], v[25:26], 2.0, -v[37:38]
	v_fma_f64 v[106:107], v[27:28], 2.0, -v[41:42]
	v_lshlrev_b64_e32 v[9:10], 4, v[67:68]
	v_add3_u32 v67, v152, v136, s2
	v_add_co_u32 v126, vcc_lo, s0, v126
	s_wait_alu 0xfffd
	v_add_co_ci_u32_e32 v127, vcc_lo, s1, v127, vcc_lo
	v_mul_f64_e32 v[25:26], v[43:44], v[74:75]
	v_mul_f64_e32 v[37:38], v[45:46], v[74:75]
	v_fma_f64 v[74:75], v[21:22], 2.0, -v[43:44]
	v_fma_f64 v[136:137], v[23:24], 2.0, -v[45:46]
	v_lshlrev_b64_e32 v[21:22], 4, v[67:68]
	v_add3_u32 v67, v152, v71, s2
	v_add_co_u32 v138, vcc_lo, s0, v9
	v_mul_f64_e32 v[41:42], v[76:77], v[86:87]
	s_wait_alu 0xfffd
	v_add_co_ci_u32_e32 v139, vcc_lo, s1, v10, vcc_lo
	v_lshlrev_b64_e32 v[23:24], 4, v[67:68]
	v_fma_f64 v[9:10], v[47:48], v[148:149], -v[124:125]
	v_mul_f64_e32 v[47:48], v[118:119], v[86:87]
	v_add_co_u32 v86, vcc_lo, s0, v21
	s_wait_alu 0xfffd
	v_add_co_ci_u32_e32 v87, vcc_lo, s1, v22, vcc_lo
	v_fma_f64 v[21:22], v[114:115], v[62:63], -v[31:32]
	v_mul_f64_e32 v[124:125], v[78:79], v[92:93]
	v_mul_f64_e32 v[92:93], v[80:81], v[92:93]
	v_mul_lo_u32 v64, s10, v155
	v_mul_f64_e32 v[144:145], v[82:83], v[128:129]
	v_fma_f64 v[11:12], v[49:50], v[148:149], v[122:123]
	v_add_co_u32 v122, vcc_lo, s0, v23
	v_mul_f64_e32 v[49:50], v[51:52], v[58:59]
	v_mul_f64_e32 v[58:59], v[39:40], v[58:59]
	s_wait_alu 0xfffd
	v_add_co_ci_u32_e32 v123, vcc_lo, s1, v24, vcc_lo
	v_fma_f64 v[23:24], v[116:117], v[62:63], v[29:30]
	v_mul_f64_e32 v[62:63], v[134:135], v[104:105]
	v_mul_f64_e32 v[104:105], v[132:133], v[104:105]
	;; [unrolled: 1-line block ×7, first 2 shown]
	v_fma_f64 v[27:28], v[45:46], v[72:73], v[25:26]
	v_fma_f64 v[25:26], v[43:44], v[72:73], -v[37:38]
	v_mul_f64_e32 v[71:72], v[74:75], v[140:141]
	v_mul_f64_e32 v[140:141], v[136:137], v[140:141]
	v_add3_u32 v67, v152, v64, s2
	v_mul_lo_u32 v43, s10, v156
	v_or_b32_e32 v53, 32, v153
	v_mul_lo_u32 v44, s10, v153
	v_fma_f64 v[31:32], v[118:119], v[142:143], v[41:42]
	v_lshlrev_b64_e32 v[37:38], 4, v[67:68]
	v_add3_u32 v67, v152, v0, s2
	v_mul_lo_u32 v45, s10, v53
	v_or_b32_e32 v0, 32, v154
	v_fma_f64 v[29:30], v[76:77], v[142:143], -v[47:48]
	v_mul_lo_u32 v148, s10, v154
	v_lshlrev_b64_e32 v[41:42], 4, v[67:68]
	v_add3_u32 v67, v152, v43, s2
	v_add_co_u32 v76, vcc_lo, s0, v37
	s_wait_alu 0xfffd
	v_add_co_ci_u32_e32 v77, vcc_lo, s1, v38, vcc_lo
	s_delay_alu instid0(VALU_DEP_3)
	v_lshlrev_b64_e32 v[118:119], 4, v[67:68]
	v_add3_u32 v67, v152, v44, s2
	v_add_co_u32 v142, vcc_lo, s0, v41
	s_wait_alu 0xfffd
	v_add_co_ci_u32_e32 v143, vcc_lo, s1, v42, vcc_lo
	v_fma_f64 v[39:40], v[39:40], v[56:57], v[49:50]
	v_fma_f64 v[37:38], v[51:52], v[56:57], -v[58:59]
	v_lshlrev_b64_e32 v[146:147], 4, v[67:68]
	v_add3_u32 v67, v152, v45, s2
	v_fma_f64 v[43:44], v[132:133], v[54:55], v[62:63]
	v_fma_f64 v[41:42], v[134:135], v[54:55], -v[104:105]
	v_fma_f64 v[47:48], v[106:107], v[100:101], v[114:115]
	v_fma_f64 v[45:46], v[60:61], v[100:101], -v[102:103]
	;; [unrolled: 2-line block ×4, first 2 shown]
	v_fma_f64 v[63:64], v[84:85], v[88:89], v[144:145]
	v_fma_f64 v[59:60], v[136:137], v[96:97], v[71:72]
	v_fma_f64 v[57:58], v[74:75], v[96:97], -v[140:141]
	v_fma_f64 v[61:62], v[82:83], v[88:89], -v[128:129]
	v_mul_lo_u32 v0, s10, v0
	v_lshlrev_b64_e32 v[73:74], 4, v[67:68]
	v_add3_u32 v67, v152, v148, s2
	v_add_co_u32 v71, vcc_lo, s0, v118
	s_wait_alu 0xfffd
	v_add_co_ci_u32_e32 v72, vcc_lo, s1, v119, vcc_lo
	s_delay_alu instid0(VALU_DEP_3)
	v_lshlrev_b64_e32 v[80:81], 4, v[67:68]
	v_add3_u32 v67, v152, v0, s2
	v_add_co_u32 v78, vcc_lo, s0, v146
	s_wait_alu 0xfffd
	v_add_co_ci_u32_e32 v79, vcc_lo, s1, v147, vcc_lo
	v_add_co_u32 v73, vcc_lo, s0, v73
	v_lshlrev_b64_e32 v[67:68], 4, v[67:68]
	s_wait_alu 0xfffd
	v_add_co_ci_u32_e32 v74, vcc_lo, s1, v74, vcc_lo
	v_add_co_u32 v80, vcc_lo, s0, v80
	s_wait_alu 0xfffd
	v_add_co_ci_u32_e32 v81, vcc_lo, s1, v81, vcc_lo
	v_add_co_u32 v67, vcc_lo, s0, v67
	s_wait_alu 0xfffd
	v_add_co_ci_u32_e32 v68, vcc_lo, s1, v68, vcc_lo
	s_clause 0xf
	global_store_b128 v[69:70], v[37:40], off
	global_store_b128 v[65:66], v[21:24], off
	;; [unrolled: 1-line block ×16, first 2 shown]
.LBB0_36:
	s_nop 0
	s_sendmsg sendmsg(MSG_DEALLOC_VGPRS)
	s_endpgm
	.section	.rodata,"a",@progbits
	.p2align	6, 0x0
	.amdhsa_kernel fft_rtc_fwd_len64_factors_4_4_2_2_wgs_64_tpt_4_dim2_dp_op_CI_CI_sbcc_twdbase8_2step_dirReg_intrinsicReadWrite
		.amdhsa_group_segment_fixed_size 0
		.amdhsa_private_segment_fixed_size 0
		.amdhsa_kernarg_size 104
		.amdhsa_user_sgpr_count 2
		.amdhsa_user_sgpr_dispatch_ptr 0
		.amdhsa_user_sgpr_queue_ptr 0
		.amdhsa_user_sgpr_kernarg_segment_ptr 1
		.amdhsa_user_sgpr_dispatch_id 0
		.amdhsa_user_sgpr_private_segment_size 0
		.amdhsa_wavefront_size32 1
		.amdhsa_uses_dynamic_stack 0
		.amdhsa_enable_private_segment 0
		.amdhsa_system_sgpr_workgroup_id_x 1
		.amdhsa_system_sgpr_workgroup_id_y 0
		.amdhsa_system_sgpr_workgroup_id_z 0
		.amdhsa_system_sgpr_workgroup_info 0
		.amdhsa_system_vgpr_workitem_id 0
		.amdhsa_next_free_vgpr 157
		.amdhsa_next_free_sgpr 20
		.amdhsa_reserve_vcc 1
		.amdhsa_float_round_mode_32 0
		.amdhsa_float_round_mode_16_64 0
		.amdhsa_float_denorm_mode_32 3
		.amdhsa_float_denorm_mode_16_64 3
		.amdhsa_fp16_overflow 0
		.amdhsa_workgroup_processor_mode 1
		.amdhsa_memory_ordered 1
		.amdhsa_forward_progress 0
		.amdhsa_round_robin_scheduling 0
		.amdhsa_exception_fp_ieee_invalid_op 0
		.amdhsa_exception_fp_denorm_src 0
		.amdhsa_exception_fp_ieee_div_zero 0
		.amdhsa_exception_fp_ieee_overflow 0
		.amdhsa_exception_fp_ieee_underflow 0
		.amdhsa_exception_fp_ieee_inexact 0
		.amdhsa_exception_int_div_zero 0
	.end_amdhsa_kernel
	.text
.Lfunc_end0:
	.size	fft_rtc_fwd_len64_factors_4_4_2_2_wgs_64_tpt_4_dim2_dp_op_CI_CI_sbcc_twdbase8_2step_dirReg_intrinsicReadWrite, .Lfunc_end0-fft_rtc_fwd_len64_factors_4_4_2_2_wgs_64_tpt_4_dim2_dp_op_CI_CI_sbcc_twdbase8_2step_dirReg_intrinsicReadWrite
                                        ; -- End function
	.section	.AMDGPU.csdata,"",@progbits
; Kernel info:
; codeLenInByte = 9072
; NumSgprs: 22
; NumVgprs: 157
; ScratchSize: 0
; MemoryBound: 0
; FloatMode: 240
; IeeeMode: 1
; LDSByteSize: 0 bytes/workgroup (compile time only)
; SGPRBlocks: 2
; VGPRBlocks: 19
; NumSGPRsForWavesPerEU: 22
; NumVGPRsForWavesPerEU: 157
; Occupancy: 9
; WaveLimiterHint : 1
; COMPUTE_PGM_RSRC2:SCRATCH_EN: 0
; COMPUTE_PGM_RSRC2:USER_SGPR: 2
; COMPUTE_PGM_RSRC2:TRAP_HANDLER: 0
; COMPUTE_PGM_RSRC2:TGID_X_EN: 1
; COMPUTE_PGM_RSRC2:TGID_Y_EN: 0
; COMPUTE_PGM_RSRC2:TGID_Z_EN: 0
; COMPUTE_PGM_RSRC2:TIDIG_COMP_CNT: 0
	.text
	.p2alignl 7, 3214868480
	.fill 96, 4, 3214868480
	.type	__hip_cuid_99c18cbdccf1623d,@object ; @__hip_cuid_99c18cbdccf1623d
	.section	.bss,"aw",@nobits
	.globl	__hip_cuid_99c18cbdccf1623d
__hip_cuid_99c18cbdccf1623d:
	.byte	0                               ; 0x0
	.size	__hip_cuid_99c18cbdccf1623d, 1

	.ident	"AMD clang version 19.0.0git (https://github.com/RadeonOpenCompute/llvm-project roc-6.4.0 25133 c7fe45cf4b819c5991fe208aaa96edf142730f1d)"
	.section	".note.GNU-stack","",@progbits
	.addrsig
	.addrsig_sym __hip_cuid_99c18cbdccf1623d
	.amdgpu_metadata
---
amdhsa.kernels:
  - .args:
      - .actual_access:  read_only
        .address_space:  global
        .offset:         0
        .size:           8
        .value_kind:     global_buffer
      - .address_space:  global
        .offset:         8
        .size:           8
        .value_kind:     global_buffer
      - .actual_access:  read_only
        .address_space:  global
        .offset:         16
        .size:           8
        .value_kind:     global_buffer
      - .actual_access:  read_only
        .address_space:  global
        .offset:         24
        .size:           8
        .value_kind:     global_buffer
      - .actual_access:  read_only
        .address_space:  global
        .offset:         32
        .size:           8
        .value_kind:     global_buffer
      - .offset:         40
        .size:           8
        .value_kind:     by_value
      - .actual_access:  read_only
        .address_space:  global
        .offset:         48
        .size:           8
        .value_kind:     global_buffer
      - .actual_access:  read_only
        .address_space:  global
        .offset:         56
        .size:           8
        .value_kind:     global_buffer
      - .offset:         64
        .size:           4
        .value_kind:     by_value
      - .actual_access:  read_only
        .address_space:  global
        .offset:         72
        .size:           8
        .value_kind:     global_buffer
      - .actual_access:  read_only
        .address_space:  global
        .offset:         80
        .size:           8
        .value_kind:     global_buffer
      - .actual_access:  read_only
        .address_space:  global
        .offset:         88
        .size:           8
        .value_kind:     global_buffer
      - .actual_access:  write_only
        .address_space:  global
        .offset:         96
        .size:           8
        .value_kind:     global_buffer
    .group_segment_fixed_size: 0
    .kernarg_segment_align: 8
    .kernarg_segment_size: 104
    .language:       OpenCL C
    .language_version:
      - 2
      - 0
    .max_flat_workgroup_size: 64
    .name:           fft_rtc_fwd_len64_factors_4_4_2_2_wgs_64_tpt_4_dim2_dp_op_CI_CI_sbcc_twdbase8_2step_dirReg_intrinsicReadWrite
    .private_segment_fixed_size: 0
    .sgpr_count:     22
    .sgpr_spill_count: 0
    .symbol:         fft_rtc_fwd_len64_factors_4_4_2_2_wgs_64_tpt_4_dim2_dp_op_CI_CI_sbcc_twdbase8_2step_dirReg_intrinsicReadWrite.kd
    .uniform_work_group_size: 1
    .uses_dynamic_stack: false
    .vgpr_count:     157
    .vgpr_spill_count: 0
    .wavefront_size: 32
    .workgroup_processor_mode: 1
amdhsa.target:   amdgcn-amd-amdhsa--gfx1201
amdhsa.version:
  - 1
  - 2
...

	.end_amdgpu_metadata
